;; amdgpu-corpus repo=ROCm/rocFFT kind=compiled arch=gfx950 opt=O3
	.text
	.amdgcn_target "amdgcn-amd-amdhsa--gfx950"
	.amdhsa_code_object_version 6
	.protected	bluestein_single_fwd_len1050_dim1_sp_op_CI_CI ; -- Begin function bluestein_single_fwd_len1050_dim1_sp_op_CI_CI
	.globl	bluestein_single_fwd_len1050_dim1_sp_op_CI_CI
	.p2align	8
	.type	bluestein_single_fwd_len1050_dim1_sp_op_CI_CI,@function
bluestein_single_fwd_len1050_dim1_sp_op_CI_CI: ; @bluestein_single_fwd_len1050_dim1_sp_op_CI_CI
; %bb.0:
	s_load_dwordx4 s[8:11], s[0:1], 0x28
	v_mul_u32_u24_e32 v1, 0x139, v0
	v_mov_b32_e32 v47, 0
	v_add_u32_sdwa v48, s2, v1 dst_sel:DWORD dst_unused:UNUSED_PAD src0_sel:DWORD src1_sel:WORD_1
	v_mov_b32_e32 v49, v47
	s_waitcnt lgkmcnt(0)
	v_cmp_gt_u64_e32 vcc, s[8:9], v[48:49]
	s_and_saveexec_b64 s[2:3], vcc
	s_cbranch_execz .LBB0_33
; %bb.1:
	s_load_dwordx4 s[4:7], s[0:1], 0x18
	s_load_dwordx2 s[14:15], s[0:1], 0x0
	v_mov_b32_e32 v2, s10
	v_mov_b32_e32 v3, s11
	s_movk_i32 s2, 0xd2
	s_waitcnt lgkmcnt(0)
	s_load_dwordx4 s[8:11], s[4:5], 0x0
	v_mul_lo_u16_sdwa v1, v1, s2 dst_sel:DWORD dst_unused:UNUSED_PAD src0_sel:WORD_1 src1_sel:DWORD
	v_sub_u16_e32 v46, v0, v1
	v_lshlrev_b32_e32 v42, 3, v46
	v_mov_b32_e32 v43, v47
	s_waitcnt lgkmcnt(0)
	v_mad_u64_u32 v[0:1], s[2:3], s10, v48, 0
	v_mov_b32_e32 v4, v1
	v_mad_u64_u32 v[4:5], s[2:3], s11, v48, v[4:5]
	v_mov_b32_e32 v1, v4
	v_mad_u64_u32 v[4:5], s[2:3], s8, v46, 0
	v_mov_b32_e32 v6, v5
	v_mad_u64_u32 v[6:7], s[2:3], s9, v46, v[6:7]
	v_lshl_add_u64 v[44:45], s[14:15], 0, v[42:43]
	s_mul_i32 s2, s9, 0x20d
	s_mul_hi_u32 s3, s8, 0x20d
	s_movk_i32 s4, 0x1000
	v_mov_b32_e32 v5, v6
	v_lshl_add_u64 v[0:1], v[0:1], 3, v[2:3]
	s_add_i32 s3, s3, s2
	s_mul_i32 s2, s8, 0x20d
	v_add_co_u32_e32 v8, vcc, s4, v44
	s_mul_hi_u32 s5, s8, 0xfffffec5
	v_lshl_add_u64 v[0:1], v[4:5], 3, v[0:1]
	s_lshl_b64 s[10:11], s[2:3], 3
	v_addc_co_u32_e32 v9, vcc, 0, v45, vcc
	s_mul_i32 s4, s9, 0xfffffec5
	s_sub_i32 s5, s5, s8
	v_lshl_add_u64 v[2:3], v[0:1], 0, s[10:11]
	global_load_dwordx2 v[4:5], v[0:1], off
	global_load_dwordx2 v[6:7], v[2:3], off
	global_load_dwordx2 v[54:55], v[8:9], off offset:104
	global_load_dwordx2 v[56:57], v42, s[14:15]
	s_add_i32 s5, s5, s4
	s_mul_i32 s4, s8, 0xfffffec5
	v_lshl_add_u64 v[0:1], s[4:5], 3, v[2:3]
	global_load_dwordx2 v[2:3], v[0:1], off
	global_load_dwordx2 v[52:53], v42, s[14:15] offset:1680
	v_lshl_add_u64 v[0:1], v[0:1], 0, s[10:11]
	global_load_dwordx2 v[50:51], v[8:9], off offset:1784
	global_load_dwordx2 v[10:11], v[0:1], off
	s_load_dwordx2 s[12:13], s[0:1], 0x38
	s_load_dwordx4 s[8:11], s[6:7], 0x0
	s_movk_i32 s16, 0x69
	v_cmp_gt_u16_e64 s[6:7], s16, v46
	s_waitcnt vmcnt(4)
	v_mul_f32_e32 v8, v5, v57
	v_mul_f32_e32 v9, v4, v57
	v_fmac_f32_e32 v8, v4, v56
	v_fma_f32 v9, v5, v56, -v9
	v_mul_f32_e32 v4, v7, v55
	v_mul_f32_e32 v5, v6, v55
	v_fmac_f32_e32 v4, v6, v54
	v_fma_f32 v5, v7, v54, -v5
	s_waitcnt vmcnt(2)
	v_mul_f32_e32 v6, v3, v53
	v_mul_f32_e32 v7, v2, v53
	v_fmac_f32_e32 v6, v2, v52
	v_fma_f32 v7, v3, v52, -v7
	s_waitcnt vmcnt(0)
	v_mul_f32_e32 v2, v11, v51
	v_mul_f32_e32 v3, v10, v51
	v_fmac_f32_e32 v2, v10, v50
	v_fma_f32 v3, v11, v50, -v3
	ds_write_b64 v42, v[4:5] offset:4200
	ds_write2_b64 v42, v[8:9], v[6:7] offset1:210
	ds_write_b64 v42, v[2:3] offset:5880
	s_and_saveexec_b64 s[16:17], s[6:7]
	s_cbranch_execz .LBB0_3
; %bb.2:
	v_lshl_add_u64 v[0:1], s[4:5], 3, v[0:1]
	v_add_co_u32_e32 v6, vcc, 0x1000, v44
	global_load_dwordx2 v[2:3], v[0:1], off
	global_load_dwordx2 v[4:5], v[44:45], off offset:3360
	v_lshl_add_u64 v[0:1], s[2:3], 3, v[0:1]
	v_addc_co_u32_e32 v7, vcc, 0, v45, vcc
	global_load_dwordx2 v[0:1], v[0:1], off
	s_waitcnt vmcnt(1)
	v_mul_f32_e32 v8, v3, v5
	global_load_dwordx2 v[6:7], v[6:7], off offset:3464
	v_mul_f32_e32 v5, v2, v5
	v_fmac_f32_e32 v8, v2, v4
	v_fma_f32 v9, v3, v4, -v5
	ds_write_b64 v42, v[8:9] offset:3360
	s_waitcnt vmcnt(0)
	v_mul_f32_e32 v2, v1, v7
	v_mul_f32_e32 v3, v0, v7
	v_fmac_f32_e32 v2, v0, v6
	v_fma_f32 v3, v1, v6, -v3
	ds_write_b64 v42, v[2:3] offset:7560
.LBB0_3:
	s_or_b64 exec, exec, s[16:17]
	v_add_u32_e32 v4, 0x1000, v42
	s_waitcnt lgkmcnt(0)
	s_barrier
	ds_read2_b64 v[0:3], v42 offset1:210
	ds_read2_b64 v[4:7], v4 offset0:13 offset1:223
                                        ; implicit-def: $vgpr12
                                        ; implicit-def: $vgpr8
	s_and_saveexec_b64 s[2:3], s[6:7]
	s_cbranch_execz .LBB0_5
; %bb.4:
	ds_read_b64 v[12:13], v42 offset:3360
	ds_read_b64 v[8:9], v42 offset:7560
.LBB0_5:
	s_or_b64 exec, exec, s[2:3]
	s_load_dwordx2 s[0:1], s[0:1], 0x8
	s_mov_b64 s[2:3], 0xd2
	v_lshl_add_u64 v[10:11], v[46:47], 0, s[2:3]
	s_mov_b64 s[2:3], 0x1a4
	v_lshl_add_u64 v[16:17], v[46:47], 0, s[2:3]
	s_waitcnt lgkmcnt(0)
	v_pk_add_f32 v[14:15], v[0:1], v[4:5] neg_lo:[0,1] neg_hi:[0,1]
	v_pk_add_f32 v[4:5], v[2:3], v[6:7] neg_lo:[0,1] neg_hi:[0,1]
	;; [unrolled: 1-line block ×3, first 2 shown]
	v_lshlrev_b16_e32 v11, 1, v46
	v_pk_fma_f32 v[6:7], v[12:13], 2.0, v[8:9] op_sel_hi:[1,0,1] neg_lo:[0,0,1] neg_hi:[0,0,1]
	v_lshlrev_b32_e32 v69, 3, v11
	v_pk_fma_f32 v[12:13], v[0:1], 2.0, v[14:15] op_sel_hi:[1,0,1] neg_lo:[0,0,1] neg_hi:[0,0,1]
	v_lshlrev_b32_e32 v70, 4, v10
	;; [unrolled: 2-line block ×3, first 2 shown]
	s_barrier
	ds_write_b128 v69, v[12:15]
	ds_write_b128 v70, v[2:5]
	s_and_saveexec_b64 s[2:3], s[6:7]
	s_cbranch_execz .LBB0_7
; %bb.6:
	ds_write_b128 v68, v[6:9]
.LBB0_7:
	s_or_b64 exec, exec, s[2:3]
	s_waitcnt lgkmcnt(0)
	s_barrier
	ds_read_b64 v[12:13], v42
	ds_read_b64 v[16:17], v42 offset:2800
	ds_read_b64 v[14:15], v42 offset:5600
	s_movk_i32 s2, 0x8c
	v_cmp_gt_u16_e64 s[2:3], s2, v46
	s_and_saveexec_b64 s[4:5], s[2:3]
	s_cbranch_execz .LBB0_9
; %bb.8:
	ds_read_b64 v[4:5], v42 offset:1680
	ds_read_b64 v[6:7], v42 offset:4480
	ds_read_b64 v[8:9], v42 offset:7280
.LBB0_9:
	s_or_b64 exec, exec, s[4:5]
	v_and_b32_e32 v43, 1, v46
	v_lshlrev_b32_e32 v0, 4, v43
	global_load_dwordx4 v[0:3], v0, s[0:1]
	s_mov_b32 s4, 0x3f5db3d7
	v_lshrrev_b32_e32 v11, 1, v46
	v_mul_u32_u24_e32 v11, 6, v11
	v_or_b32_e32 v11, v11, v43
	v_lshlrev_b32_e32 v47, 3, v11
	v_lshrrev_b32_e32 v49, 1, v10
	s_waitcnt lgkmcnt(0)
	s_barrier
	s_waitcnt vmcnt(0)
	v_pk_mul_f32 v[18:19], v[6:7], v[0:1] op_sel:[1,0]
	v_pk_mul_f32 v[20:21], v[8:9], v[2:3] op_sel:[1,0]
	;; [unrolled: 1-line block ×3, first 2 shown]
	v_mov_b32_e32 v24, v3
	v_pk_fma_f32 v[26:27], v[6:7], v[0:1], v[18:19] op_sel:[0,0,1] op_sel_hi:[0,1,0]
	v_pk_fma_f32 v[6:7], v[6:7], v[0:1], v[18:19] op_sel:[0,0,1] op_sel_hi:[0,1,0] neg_lo:[0,0,1] neg_hi:[0,0,1]
	v_pk_fma_f32 v[18:19], v[8:9], v[2:3], v[20:21] op_sel:[0,0,1] op_sel_hi:[0,1,0]
	v_pk_fma_f32 v[8:9], v[8:9], v[2:3], v[20:21] op_sel:[0,0,1] op_sel_hi:[0,1,0] neg_lo:[0,0,1] neg_hi:[0,0,1]
	v_pk_fma_f32 v[20:21], v[16:17], v[0:1], v[22:23] op_sel:[0,0,1] op_sel_hi:[1,1,0] neg_lo:[0,0,1] neg_hi:[0,0,1]
	v_pk_fma_f32 v[16:17], v[16:17], v[0:1], v[22:23] op_sel:[0,0,1] op_sel_hi:[1,0,0]
	v_pk_mul_f32 v[22:23], v[14:15], v[24:25] op_sel_hi:[1,0]
	v_mov_b32_e32 v7, v27
	v_mov_b32_e32 v9, v19
	;; [unrolled: 1-line block ×3, first 2 shown]
	v_pk_fma_f32 v[16:17], v[14:15], v[2:3], v[22:23] op_sel:[0,0,1] op_sel_hi:[1,1,0] neg_lo:[0,0,1] neg_hi:[0,0,1]
	v_pk_fma_f32 v[14:15], v[14:15], v[2:3], v[22:23] op_sel:[0,0,1] op_sel_hi:[1,0,0]
	v_pk_add_f32 v[18:19], v[6:7], v[8:9]
	v_pk_add_f32 v[22:23], v[6:7], v[8:9] neg_lo:[0,1] neg_hi:[0,1]
	v_mov_b32_e32 v17, v15
	v_pk_add_f32 v[14:15], v[12:13], v[20:21]
	v_pk_fma_f32 v[18:19], v[18:19], 0.5, v[4:5] op_sel_hi:[1,0,1] neg_lo:[1,0,0] neg_hi:[1,0,0]
	v_pk_mul_f32 v[22:23], v[22:23], s[4:5] op_sel_hi:[1,0]
	v_pk_add_f32 v[26:27], v[20:21], v[16:17]
	v_pk_add_f32 v[20:21], v[20:21], v[16:17] neg_lo:[0,1] neg_hi:[0,1]
	v_pk_add_f32 v[24:25], v[14:15], v[16:17]
	v_pk_add_f32 v[14:15], v[18:19], v[22:23] op_sel:[0,1] op_sel_hi:[1,0]
	v_pk_add_f32 v[16:17], v[18:19], v[22:23] op_sel:[0,1] op_sel_hi:[1,0] neg_lo:[0,1] neg_hi:[0,1]
	v_pk_fma_f32 v[12:13], v[26:27], 0.5, v[12:13] op_sel_hi:[1,0,1] neg_lo:[1,0,0] neg_hi:[1,0,0]
	v_pk_mul_f32 v[18:19], v[20:21], s[4:5] op_sel_hi:[1,0]
	v_mov_b32_e32 v32, v16
	v_pk_add_f32 v[20:21], v[12:13], v[18:19] op_sel:[0,1] op_sel_hi:[1,0]
	v_pk_add_f32 v[12:13], v[12:13], v[18:19] op_sel:[0,1] op_sel_hi:[1,0] neg_lo:[0,1] neg_hi:[0,1]
	v_mov_b32_e32 v33, v15
	v_mov_b32_e32 v18, v20
	;; [unrolled: 1-line block ×4, first 2 shown]
	ds_write2_b64 v47, v[24:25], v[18:19] offset1:2
	ds_write_b64 v47, v[12:13] offset:32
	s_and_saveexec_b64 s[4:5], s[2:3]
	s_cbranch_execz .LBB0_11
; %bb.10:
	v_mul_u32_u24_e32 v10, 6, v49
	v_or_b32_e32 v10, v10, v43
	v_pk_add_f32 v[4:5], v[4:5], v[6:7]
	v_lshlrev_b32_e32 v10, 3, v10
	v_pk_add_f32 v[4:5], v[4:5], v[8:9]
	v_mov_b32_e32 v15, v17
	ds_write2_b64 v10, v[4:5], v[14:15] offset1:2
	ds_write_b64 v10, v[32:33] offset:32
.LBB0_11:
	s_or_b64 exec, exec, s[4:5]
	s_movk_i32 s4, 0xab
	v_mul_lo_u16_sdwa v4, v46, s4 dst_sel:DWORD dst_unused:UNUSED_PAD src0_sel:BYTE_0 src1_sel:DWORD
	v_lshrrev_b16_e32 v22, 10, v4
	v_mul_lo_u16_e32 v4, 6, v22
	v_sub_u16_e32 v4, v46, v4
	v_and_b32_e32 v23, 0xff, v4
	v_lshlrev_b32_e32 v12, 5, v23
	s_waitcnt lgkmcnt(0)
	s_barrier
	global_load_dwordx4 v[8:11], v12, s[0:1] offset:32
	global_load_dwordx4 v[4:7], v12, s[0:1] offset:48
	v_add_u32_e32 v40, 0xc00, v42
	ds_read2_b64 v[12:15], v42 offset1:210
	s_movk_i32 s5, 0x89
	ds_read2_b64 v[16:19], v40 offset0:36 offset1:246
	ds_read_b64 v[20:21], v42 offset:6720
	v_mul_lo_u16_sdwa v24, v46, s5 dst_sel:DWORD dst_unused:UNUSED_PAD src0_sel:BYTE_0 src1_sel:DWORD
	v_lshrrev_b16_e32 v41, 12, v24
	v_mul_lo_u16_e32 v24, 30, v41
	v_mul_u32_u24_e32 v22, 30, v22
	v_sub_u16_e32 v24, v46, v24
	v_and_b32_e32 v58, 0xff, v24
	v_add_lshl_u32 v88, v22, v23, 3
	s_mov_b32 s16, 0x3f737871
	s_mov_b32 s18, 0x3f167918
	;; [unrolled: 1-line block ×3, first 2 shown]
	v_lshlrev_b32_e32 v59, 5, v58
	s_waitcnt lgkmcnt(0)
	s_barrier
	s_waitcnt vmcnt(1)
	v_pk_mul_f32 v[22:23], v[14:15], v[8:9] op_sel:[0,1]
	v_mov_b32_e32 v24, v11
	s_waitcnt vmcnt(0)
	v_pk_mul_f32 v[26:27], v[18:19], v[4:5] op_sel:[0,1]
	v_mov_b32_e32 v28, v7
	v_pk_fma_f32 v[30:31], v[14:15], v[8:9], v[22:23] op_sel:[0,0,1] op_sel_hi:[1,1,0] neg_lo:[0,0,1] neg_hi:[0,0,1]
	v_pk_fma_f32 v[14:15], v[14:15], v[8:9], v[22:23] op_sel:[0,0,1] op_sel_hi:[1,0,0]
	v_pk_mul_f32 v[22:23], v[16:17], v[24:25] op_sel_hi:[1,0]
	v_pk_fma_f32 v[24:25], v[18:19], v[4:5], v[26:27] op_sel:[0,0,1] op_sel_hi:[1,1,0] neg_lo:[0,0,1] neg_hi:[0,0,1]
	v_pk_fma_f32 v[18:19], v[18:19], v[4:5], v[26:27] op_sel:[0,0,1] op_sel_hi:[1,0,0]
	v_pk_mul_f32 v[26:27], v[20:21], v[28:29] op_sel_hi:[1,0]
	v_mov_b32_e32 v31, v15
	v_pk_fma_f32 v[14:15], v[16:17], v[10:11], v[22:23] op_sel:[0,0,1] op_sel_hi:[1,1,0] neg_lo:[0,0,1] neg_hi:[0,0,1]
	v_pk_fma_f32 v[16:17], v[16:17], v[10:11], v[22:23] op_sel:[0,0,1] op_sel_hi:[1,0,0]
	v_mov_b32_e32 v25, v19
	v_pk_fma_f32 v[18:19], v[20:21], v[6:7], v[26:27] op_sel:[0,0,1] op_sel_hi:[1,1,0] neg_lo:[0,0,1] neg_hi:[0,0,1]
	v_pk_fma_f32 v[20:21], v[20:21], v[6:7], v[26:27] op_sel:[0,0,1] op_sel_hi:[1,0,0]
	v_mov_b32_e32 v15, v17
	v_mov_b32_e32 v19, v21
	v_pk_add_f32 v[16:17], v[12:13], v[30:31]
	v_pk_add_f32 v[20:21], v[14:15], v[24:25]
	;; [unrolled: 1-line block ×3, first 2 shown]
	v_pk_add_f32 v[22:23], v[30:31], v[18:19] neg_lo:[0,1] neg_hi:[0,1]
	v_pk_add_f32 v[26:27], v[14:15], v[24:25] neg_lo:[0,1] neg_hi:[0,1]
	v_pk_add_f32 v[36:37], v[30:31], v[18:19]
	v_pk_add_f32 v[28:29], v[30:31], v[14:15] neg_lo:[0,1] neg_hi:[0,1]
	v_pk_add_f32 v[34:35], v[18:19], v[24:25] neg_lo:[0,1] neg_hi:[0,1]
	;; [unrolled: 1-line block ×4, first 2 shown]
	v_pk_add_f32 v[16:17], v[16:17], v[24:25]
	v_pk_fma_f32 v[20:21], v[20:21], 0.5, v[12:13] op_sel_hi:[1,0,1] neg_lo:[1,0,0] neg_hi:[1,0,0]
	v_pk_mul_f32 v[24:25], v[22:23], s[16:17] op_sel_hi:[1,0]
	v_pk_mul_f32 v[38:39], v[26:27], s[18:19] op_sel_hi:[1,0]
	v_pk_fma_f32 v[12:13], v[36:37], 0.5, v[12:13] op_sel_hi:[1,0,1] neg_lo:[1,0,0] neg_hi:[1,0,0]
	v_pk_mul_f32 v[26:27], v[26:27], s[16:17] op_sel_hi:[1,0]
	v_pk_mul_f32 v[22:23], v[22:23], s[18:19] op_sel_hi:[1,0]
	v_pk_add_f32 v[16:17], v[16:17], v[18:19]
	v_pk_add_f32 v[18:19], v[20:21], v[24:25] op_sel:[0,1] op_sel_hi:[1,0]
	v_pk_add_f32 v[20:21], v[20:21], v[24:25] op_sel:[0,1] op_sel_hi:[1,0] neg_lo:[0,1] neg_hi:[0,1]
	v_pk_add_f32 v[24:25], v[12:13], v[26:27] op_sel:[0,1] op_sel_hi:[1,0] neg_lo:[0,1] neg_hi:[0,1]
	v_pk_add_f32 v[12:13], v[12:13], v[26:27] op_sel:[0,1] op_sel_hi:[1,0]
	v_pk_add_f32 v[20:21], v[20:21], v[38:39] op_sel:[0,1] op_sel_hi:[1,0] neg_lo:[0,1] neg_hi:[0,1]
	v_pk_add_f32 v[18:19], v[18:19], v[38:39] op_sel:[0,1] op_sel_hi:[1,0]
	;; [unrolled: 2-line block ×3, first 2 shown]
	v_pk_add_f32 v[28:29], v[28:29], v[34:35]
	v_pk_add_f32 v[14:15], v[14:15], v[30:31]
	v_mov_b32_e32 v24, v18
	v_mov_b32_e32 v25, v21
	v_mov_b32_e32 v26, v22
	v_mov_b32_e32 v27, v13
	v_mov_b32_e32 v13, v23
	v_mov_b32_e32 v21, v19
	v_pk_fma_f32 v[18:19], v[28:29], s[4:5], v[24:25] op_sel_hi:[1,0,1]
	v_pk_fma_f32 v[22:23], v[14:15], s[4:5], v[26:27] op_sel_hi:[1,0,1]
	;; [unrolled: 1-line block ×4, first 2 shown]
	ds_write2_b64 v88, v[16:17], v[18:19] offset1:6
	ds_write2_b64 v88, v[22:23], v[12:13] offset0:12 offset1:18
	ds_write_b64 v88, v[14:15] offset:192
	s_waitcnt lgkmcnt(0)
	s_barrier
	global_load_dwordx4 v[16:19], v59, s[0:1] offset:224
	global_load_dwordx4 v[12:15], v59, s[0:1] offset:240
	v_mul_u32_u24_e32 v20, 0x96, v41
	v_add_lshl_u32 v89, v20, v58, 3
	ds_read2_b64 v[20:23], v42 offset1:210
	ds_read2_b64 v[24:27], v40 offset0:36 offset1:246
	ds_read_b64 v[28:29], v42 offset:6720
	s_mov_b32 s17, s18
	s_mov_b32 s19, s16
	s_movk_i32 s5, 0x96
	s_waitcnt lgkmcnt(0)
	s_barrier
	s_waitcnt vmcnt(1)
	v_pk_mul_f32 v[30:31], v[22:23], v[16:17] op_sel:[0,1]
	v_mov_b32_e32 v34, v19
	s_waitcnt vmcnt(0)
	v_pk_mul_f32 v[36:37], v[26:27], v[12:13] op_sel:[0,1]
	v_mov_b32_e32 v38, v15
	v_pk_fma_f32 v[40:41], v[22:23], v[16:17], v[30:31] op_sel:[0,0,1] op_sel_hi:[1,0,0]
	v_pk_fma_f32 v[22:23], v[22:23], v[16:17], v[30:31] op_sel:[0,0,1] op_sel_hi:[1,0,0] neg_lo:[0,0,1] neg_hi:[0,0,1]
	v_pk_mul_f32 v[30:31], v[24:25], v[34:35] op_sel_hi:[1,0]
	v_pk_fma_f32 v[34:35], v[26:27], v[12:13], v[36:37] op_sel:[0,0,1] op_sel_hi:[1,0,0]
	v_pk_fma_f32 v[26:27], v[26:27], v[12:13], v[36:37] op_sel:[0,0,1] op_sel_hi:[1,0,0] neg_lo:[0,0,1] neg_hi:[0,0,1]
	v_pk_mul_f32 v[36:37], v[28:29], v[38:39] op_sel_hi:[1,0]
	v_mov_b32_e32 v23, v41
	v_pk_fma_f32 v[38:39], v[24:25], v[18:19], v[30:31] op_sel:[0,0,1] op_sel_hi:[1,0,0]
	v_pk_fma_f32 v[24:25], v[24:25], v[18:19], v[30:31] op_sel:[0,0,1] op_sel_hi:[1,0,0] neg_lo:[0,0,1] neg_hi:[0,0,1]
	v_pk_fma_f32 v[30:31], v[28:29], v[14:15], v[36:37] op_sel:[0,0,1] op_sel_hi:[1,0,0]
	v_pk_fma_f32 v[28:29], v[28:29], v[14:15], v[36:37] op_sel:[0,0,1] op_sel_hi:[1,0,0] neg_lo:[0,0,1] neg_hi:[0,0,1]
	v_mov_b32_e32 v27, v35
	v_mov_b32_e32 v37, v22
	;; [unrolled: 1-line block ×15, first 2 shown]
	v_pk_add_f32 v[64:65], v[20:21], v[22:23]
	v_pk_add_f32 v[36:37], v[36:37], v[58:59] neg_lo:[0,1] neg_hi:[0,1]
	v_pk_add_f32 v[58:59], v[60:61], v[62:63] neg_lo:[0,1] neg_hi:[0,1]
	;; [unrolled: 1-line block ×4, first 2 shown]
	v_pk_add_f32 v[34:35], v[64:65], v[24:25]
	v_pk_add_f32 v[40:41], v[22:23], v[28:29] neg_lo:[0,1] neg_hi:[0,1]
	v_pk_add_f32 v[60:61], v[24:25], v[26:27] neg_lo:[0,1] neg_hi:[0,1]
	v_pk_add_f32 v[22:23], v[22:23], v[28:29]
	v_pk_add_f32 v[24:25], v[24:25], v[26:27]
	;; [unrolled: 1-line block ×5, first 2 shown]
	v_mov_b32_e32 v36, v41
	v_mov_b32_e32 v37, v61
	v_pk_fma_f32 v[22:23], v[22:23], 0.5, v[20:21] op_sel_hi:[1,0,1] neg_lo:[1,0,0] neg_hi:[1,0,0]
	v_pk_mul_f32 v[38:39], v[60:61], s[16:17] op_sel_hi:[1,0]
	v_mov_b32_e32 v61, v40
	v_pk_fma_f32 v[20:21], v[24:25], 0.5, v[20:21] op_sel_hi:[1,0,1] neg_lo:[1,0,0] neg_hi:[1,0,0]
	v_pk_mul_f32 v[40:41], v[40:41], s[18:19] op_sel_hi:[1,0]
	v_pk_add_f32 v[34:35], v[26:27], v[28:29]
	v_pk_mul_f32 v[26:27], v[36:37], s[16:17]
	v_pk_add_f32 v[28:29], v[38:39], v[22:23] op_sel:[1,0] op_sel_hi:[0,1]
	v_pk_mul_f32 v[64:65], v[60:61], s[18:19]
	v_pk_add_f32 v[22:23], v[22:23], v[38:39] op_sel:[0,1] op_sel_hi:[1,0] neg_lo:[0,1] neg_hi:[0,1]
	v_pk_fma_f32 v[72:73], v[60:61], s[18:19], v[20:21] neg_lo:[1,0,0] neg_hi:[1,0,0]
	v_pk_mul_f32 v[24:25], v[58:59], s[4:5] op_sel_hi:[1,0]
	v_pk_mul_f32 v[62:63], v[30:31], s[4:5] op_sel_hi:[1,0]
	v_mov_b32_e32 v66, v41
	v_pk_fma_f32 v[38:39], v[36:37], s[16:17], v[20:21]
	v_pk_fma_f32 v[36:37], v[36:37], s[16:17], v[20:21] neg_lo:[1,0,0] neg_hi:[1,0,0]
	v_pk_fma_f32 v[20:21], v[60:61], s[18:19], v[20:21]
	v_mov_b32_e32 v67, v64
	v_pk_add_f32 v[60:61], v[22:23], v[40:41] op_sel:[0,1] op_sel_hi:[1,0]
	v_pk_add_f32 v[74:75], v[28:29], v[40:41] op_sel:[0,1] op_sel_hi:[1,0] neg_lo:[0,1] neg_hi:[0,1]
	v_mov_b32_e32 v41, v27
	v_mov_b32_e32 v29, v73
	;; [unrolled: 1-line block ×9, first 2 shown]
	v_pk_add_f32 v[24:25], v[28:29], v[66:67] neg_lo:[0,1] neg_hi:[0,1]
	v_pk_add_f32 v[28:29], v[36:37], v[26:27] neg_lo:[0,1] neg_hi:[0,1]
	v_pk_add_f32 v[20:21], v[20:21], v[26:27]
	v_mov_b32_e32 v61, v75
	v_mov_b32_e32 v29, v21
	v_pk_add_f32 v[20:21], v[40:41], v[22:23]
	v_pk_add_f32 v[38:39], v[76:77], v[60:61]
	v_pk_fma_f32 v[60:61], v[30:31], s[4:5], v[24:25] op_sel_hi:[1,0,1]
	v_pk_fma_f32 v[40:41], v[58:59], s[4:5], v[20:21] op_sel_hi:[1,0,1]
	v_mov_b32_e32 v21, v61
	v_mov_b32_e32 v20, v41
	s_movk_i32 s16, 0x95
	v_pk_add_f32 v[36:37], v[62:63], v[28:29]
	ds_write2_b64 v89, v[34:35], v[20:21] offset1:30
	v_mov_b32_e32 v20, v60
	v_mov_b32_e32 v21, v40
	v_cmp_gt_u16_e64 s[4:5], s5, v46
	v_cmp_lt_u16_e32 vcc, s16, v46
	ds_write2_b64 v89, v[38:39], v[20:21] offset0:60 offset1:90
	ds_write_b64 v89, v[36:37] offset:960
	s_waitcnt lgkmcnt(0)
	s_barrier
	s_waitcnt lgkmcnt(0)
                                        ; implicit-def: $vgpr62_vgpr63
	s_and_saveexec_b64 s[16:17], vcc
	s_xor_b64 s[16:17], exec, s[16:17]
; %bb.12:
	v_mov_b32_e32 v62, v37
; %bb.13:
	s_andn2_saveexec_b64 s[16:17], s[16:17]
	s_cbranch_execz .LBB0_15
; %bb.14:
	v_add_u32_e32 v20, 0x800, v42
	ds_read2_b64 v[38:41], v20 offset0:44 offset1:194
	ds_read2_b64 v[34:37], v42 offset1:150
	v_add_u32_e32 v22, 0x1000, v42
	ds_read_b64 v[20:21], v42 offset:7200
	ds_read2_b64 v[30:33], v22 offset0:88 offset1:238
	s_waitcnt lgkmcnt(3)
	v_mov_b32_e32 v60, v40
	s_waitcnt lgkmcnt(2)
	v_mov_b32_e32 v61, v37
	v_mov_b32_e32 v40, v41
	;; [unrolled: 1-line block ×3, first 2 shown]
	s_waitcnt lgkmcnt(0)
	v_mov_b32_e32 v36, v30
	v_mov_b32_e32 v37, v21
	;; [unrolled: 1-line block ×4, first 2 shown]
.LBB0_15:
	s_or_b64 exec, exec, s[16:17]
	v_add_u32_e32 v20, 0xffffff6a, v46
	v_cndmask_b32_e64 v20, v20, v46, s[4:5]
	v_mul_hi_i32_i24_e32 v21, 48, v20
	v_mul_i32_i24_e32 v20, 48, v20
	v_lshl_add_u64 v[58:59], s[0:1], 0, v[20:21]
	global_load_dwordx4 v[28:31], v[58:59], off offset:1200
	global_load_dwordx4 v[20:23], v[58:59], off offset:1184
	;; [unrolled: 1-line block ×3, first 2 shown]
	v_mov_b32_e32 v78, v39
	v_mov_b32_e32 v79, v60
	;; [unrolled: 1-line block ×14, first 2 shown]
	s_mov_b32 s16, 0x3d64c772
	s_mov_b32 s17, 0x3f4a47b2
	;; [unrolled: 1-line block ×9, first 2 shown]
	s_waitcnt vmcnt(2)
	v_mov_b32_e32 v58, v31
	v_mov_b32_e32 v59, v30
	s_waitcnt vmcnt(1)
	v_pk_mul_f32 v[30:31], v[60:61], v[20:21]
	s_waitcnt vmcnt(0)
	v_mov_b32_e32 v84, v25
	v_mov_b32_e32 v30, v23
	v_pk_mul_f32 v[86:87], v[36:37], v[26:27]
	v_mov_b32_e32 v92, v29
	v_mov_b32_e32 v93, v21
	;; [unrolled: 1-line block ×11, first 2 shown]
	v_pk_mul_f32 v[38:39], v[38:39], v[30:31]
	v_mov_b32_e32 v30, v31
	v_pk_mul_f32 v[32:33], v[32:33], v[84:85]
	v_mov_b32_e32 v102, v87
	v_pk_mul_f32 v[40:41], v[40:41], v[92:93]
	v_pk_mul_f32 v[78:79], v[78:79], v[96:97]
	v_mov_b32_e32 v99, v58
	v_mov_b32_e32 v100, v58
	;; [unrolled: 1-line block ×5, first 2 shown]
	v_pk_fma_f32 v[30:31], v[64:65], v[20:21], v[30:31] neg_lo:[0,0,1] neg_hi:[0,0,1]
	v_pk_fma_f32 v[32:33], v[72:73], v[24:25], v[32:33] op_sel_hi:[0,1,1]
	v_pk_fma_f32 v[72:73], v[74:75], v[26:27], v[102:103] neg_lo:[0,0,1] neg_hi:[0,0,1]
	v_pk_fma_f32 v[74:75], v[60:61], v[90:91], v[40:41]
	v_pk_fma_f32 v[40:41], v[60:61], v[90:91], v[40:41] neg_lo:[0,0,1] neg_hi:[0,0,1]
	v_pk_fma_f32 v[60:61], v[64:65], v[28:29], v[78:79] op_sel:[0,1,0] op_sel_hi:[1,0,1]
	v_pk_fma_f32 v[64:65], v[76:77], v[94:95], v[78:79] neg_lo:[0,0,1] neg_hi:[0,0,1]
	v_pk_mul_f32 v[76:77], v[82:83], v[98:99]
	v_pk_mul_f32 v[62:63], v[62:63], v[100:101]
	v_pk_fma_f32 v[38:39], v[66:67], v[22:23], v[38:39]
	v_pk_fma_f32 v[66:67], v[66:67], v[58:59], v[76:77]
	v_pk_fma_f32 v[76:77], v[80:81], v[86:87], v[76:77] neg_lo:[0,0,1] neg_hi:[0,0,1]
	v_pk_fma_f32 v[80:81], v[36:37], v[84:85], v[62:63]
	v_pk_fma_f32 v[36:37], v[36:37], v[84:85], v[62:63] neg_lo:[0,0,1] neg_hi:[0,0,1]
	v_pk_add_f32 v[78:79], v[30:31], v[72:73]
	v_mov_b32_e32 v41, v75
	v_mov_b32_e32 v65, v61
	;; [unrolled: 1-line block ×8, first 2 shown]
	v_pk_add_f32 v[82:83], v[38:39], v[32:33]
	v_mov_b32_e32 v66, v67
	v_mov_b32_e32 v67, v36
	v_pk_add_f32 v[62:63], v[62:63], v[30:31] neg_lo:[0,1] neg_hi:[0,1]
	v_pk_add_f32 v[30:31], v[40:41], v[36:37]
	v_pk_add_f32 v[36:37], v[64:65], v[76:77]
	v_mov_b32_e32 v39, v64
	v_mov_b32_e32 v60, v61
	;; [unrolled: 1-line block ×7, first 2 shown]
	v_pk_add_f32 v[40:41], v[30:31], v[36:37] neg_lo:[0,1] neg_hi:[0,1]
	v_mov_b32_e32 v36, v78
	v_mov_b32_e32 v31, v82
	v_pk_add_f32 v[32:33], v[38:39], v[32:33] neg_lo:[0,1] neg_hi:[0,1]
	v_pk_add_f32 v[38:39], v[66:67], v[60:61] neg_lo:[0,1] neg_hi:[0,1]
	v_pk_add_f32 v[60:61], v[72:73], v[78:79]
	v_pk_add_f32 v[64:65], v[36:37], v[30:31] neg_lo:[0,1] neg_hi:[0,1]
	v_mov_b32_e32 v31, v37
	v_mov_b32_e32 v74, v38
	;; [unrolled: 1-line block ×5, first 2 shown]
	v_pk_add_f32 v[36:37], v[30:31], v[60:61]
	v_pk_add_f32 v[66:67], v[38:39], v[32:33]
	v_pk_add_f32 v[74:75], v[74:75], v[76:77] neg_lo:[0,1] neg_hi:[0,1]
	v_mov_b32_e32 v76, v62
	v_mov_b32_e32 v39, v33
	v_pk_add_f32 v[30:31], v[34:35], v[36:37]
	v_pk_mul_f32 v[64:65], v[64:65], s[18:19]
	v_pk_add_f32 v[38:39], v[76:77], v[38:39] neg_lo:[0,1] neg_hi:[0,1]
	v_pk_mul_f32 v[34:35], v[40:41], s[16:17]
	v_pk_fma_f32 v[36:37], v[36:37], s[0:1], v[30:31] op_sel_hi:[1,0,1]
	v_pk_fma_f32 v[40:41], v[40:41], s[16:17], v[64:65]
	v_pk_add_f32 v[60:61], v[66:67], v[62:63]
	v_pk_mul_f32 v[38:39], v[38:39], s[20:21]
	v_pk_mul_f32 v[66:67], v[74:75], s[22:23]
	v_pk_add_f32 v[76:77], v[40:41], v[36:37]
	v_pk_add_f32 v[40:41], v[72:73], v[78:79] neg_lo:[0,1] neg_hi:[0,1]
	v_pk_add_f32 v[32:33], v[32:33], v[62:63] neg_lo:[0,1] neg_hi:[0,1]
	s_mov_b32 s0, 0x3f3bfb3b
	v_mov_b32_e32 v62, v34
	v_mov_b32_e32 v63, v65
	;; [unrolled: 1-line block ×3, first 2 shown]
	v_pk_fma_f32 v[74:75], v[74:75], s[22:23], v[38:39]
	s_mov_b32 s16, 0x3f5ff5aa
	v_pk_fma_f32 v[62:63], v[40:41], s[0:1], v[62:63] op_sel_hi:[1,0,1] neg_lo:[0,0,1] neg_hi:[0,0,1]
	v_pk_fma_f32 v[34:35], v[40:41], s[0:1], v[64:65] op_sel_hi:[1,0,1] neg_lo:[1,0,1] neg_hi:[1,0,1]
	v_mov_b32_e32 v40, v66
	v_mov_b32_e32 v41, v39
	v_mov_b32_e32 v39, v67
	s_mov_b32 s18, 0x3ee1c552
	v_pk_fma_f32 v[40:41], v[32:33], s[16:17], v[40:41] op_sel_hi:[1,0,1] neg_lo:[0,0,1] neg_hi:[0,0,1]
	v_pk_fma_f32 v[32:33], v[32:33], s[16:17], v[38:39] op_sel_hi:[1,0,1] neg_lo:[1,0,1] neg_hi:[1,0,1]
	v_pk_fma_f32 v[74:75], v[60:61], s[18:19], v[74:75] op_sel_hi:[1,0,1]
	v_pk_add_f32 v[62:63], v[62:63], v[36:37]
	v_pk_add_f32 v[36:37], v[34:35], v[36:37]
	v_pk_fma_f32 v[34:35], v[60:61], s[18:19], v[40:41] op_sel_hi:[1,0,1]
	v_pk_fma_f32 v[40:41], v[60:61], s[18:19], v[32:33] op_sel_hi:[1,0,1]
	v_pk_add_f32 v[38:39], v[62:63], v[34:35]
	v_pk_add_f32 v[32:33], v[62:63], v[34:35] neg_lo:[0,1] neg_hi:[0,1]
	v_pk_add_f32 v[62:63], v[36:37], v[40:41] neg_lo:[0,1] neg_hi:[0,1]
	v_pk_add_f32 v[40:41], v[36:37], v[40:41]
	v_pk_add_f32 v[64:65], v[76:77], v[74:75]
	v_pk_add_f32 v[66:67], v[76:77], v[74:75] neg_lo:[0,1] neg_hi:[0,1]
	v_mov_b32_e32 v34, v38
	v_mov_b32_e32 v35, v33
	;; [unrolled: 1-line block ×6, first 2 shown]
	s_and_saveexec_b64 s[0:1], s[4:5]
	s_cbranch_execz .LBB0_17
; %bb.16:
	v_mov_b32_e32 v65, v67
	ds_write2_b64 v42, v[30:31], v[64:65] offset1:150
	v_mov_b32_e32 v41, v63
	v_mov_b32_e32 v33, v39
	v_add_u32_e32 v30, 0x800, v42
	ds_write2_b64 v30, v[40:41], v[32:33] offset0:44 offset1:194
	v_add_u32_e32 v30, 0x1000, v42
	ds_write2_b64 v30, v[34:35], v[36:37] offset0:88 offset1:238
	ds_write_b64 v42, v[60:61] offset:7200
.LBB0_17:
	s_or_b64 exec, exec, s[0:1]
	v_lshlrev_b32_e32 v30, 3, v46
	v_mov_b32_e32 v31, 0
	v_lshl_add_u64 v[32:33], s[14:15], 0, v[30:31]
	v_add_co_u32_e32 v38, vcc, 0x2000, v32
	s_waitcnt lgkmcnt(0)
	s_nop 0
	v_addc_co_u32_e32 v39, vcc, 0, v33, vcc
	s_barrier
	global_load_dwordx2 v[62:63], v[38:39], off offset:208
	s_mov_b64 s[0:1], 0x20d0
	v_lshl_add_u64 v[30:31], v[32:33], 0, s[0:1]
	v_add_co_u32_e32 v32, vcc, 0x3000, v32
	s_nop 1
	v_addc_co_u32_e32 v33, vcc, 0, v33, vcc
	global_load_dwordx2 v[66:67], v[32:33], off offset:312
	global_load_dwordx2 v[72:73], v[32:33], off offset:1992
	;; [unrolled: 1-line block ×3, first 2 shown]
	ds_read2_b64 v[38:41], v42 offset1:210
	v_add_u32_e32 v32, 0x1000, v42
	s_waitcnt vmcnt(3) lgkmcnt(0)
	v_mul_f32_e32 v33, v39, v63
	v_mul_f32_e32 v65, v38, v63
	v_fma_f32 v64, v38, v62, -v33
	v_fmac_f32_e32 v65, v39, v62
	ds_write_b64 v42, v[64:65]
	ds_read2_b64 v[62:65], v32 offset0:13 offset1:223
	s_waitcnt vmcnt(0)
	v_mul_f32_e32 v33, v41, v75
	v_mul_f32_e32 v39, v40, v75
	v_fma_f32 v38, v40, v74, -v33
	v_fmac_f32_e32 v39, v41, v74
	ds_write_b64 v42, v[38:39] offset:1680
	s_waitcnt lgkmcnt(1)
	v_mul_f32_e32 v33, v63, v67
	v_mul_f32_e32 v39, v62, v67
	;; [unrolled: 1-line block ×4, first 2 shown]
	v_fma_f32 v38, v62, v66, -v33
	v_fmac_f32_e32 v39, v63, v66
	v_fma_f32 v40, v64, v72, -v40
	v_fmac_f32_e32 v41, v65, v72
	ds_write2_b64 v32, v[38:39], v[40:41] offset0:13 offset1:223
	s_and_saveexec_b64 s[0:1], s[6:7]
	s_cbranch_execz .LBB0_19
; %bb.18:
	global_load_dwordx2 v[38:39], v[30:31], off offset:3360
	v_add_co_u32_e32 v30, vcc, 0x1000, v30
	s_nop 1
	v_addc_co_u32_e32 v31, vcc, 0, v31, vcc
	global_load_dwordx2 v[30:31], v[30:31], off offset:3464
	ds_read_b64 v[40:41], v42 offset:3360
	ds_read_b64 v[62:63], v42 offset:7560
	s_waitcnt vmcnt(1) lgkmcnt(1)
	v_mul_f32_e32 v33, v41, v39
	v_mul_f32_e32 v65, v40, v39
	v_fma_f32 v64, v40, v38, -v33
	v_fmac_f32_e32 v65, v41, v38
	ds_write_b64 v42, v[64:65] offset:3360
	s_waitcnt vmcnt(0) lgkmcnt(1)
	v_mul_f32_e32 v33, v63, v31
	v_mul_f32_e32 v39, v62, v31
	v_fma_f32 v38, v62, v30, -v33
	v_fmac_f32_e32 v39, v63, v30
	ds_write_b64 v42, v[38:39] offset:7560
.LBB0_19:
	s_or_b64 exec, exec, s[0:1]
	s_waitcnt lgkmcnt(0)
	s_barrier
	ds_read2_b64 v[38:41], v42 offset1:210
	ds_read2_b64 v[30:33], v32 offset0:13 offset1:223
	s_and_saveexec_b64 s[0:1], s[6:7]
	s_cbranch_execz .LBB0_21
; %bb.20:
	ds_read_b64 v[34:35], v42 offset:3360
	ds_read_b64 v[36:37], v42 offset:7560
.LBB0_21:
	s_or_b64 exec, exec, s[0:1]
	s_waitcnt lgkmcnt(0)
	v_pk_add_f32 v[64:65], v[38:39], v[30:31] neg_lo:[0,1] neg_hi:[0,1]
	v_pk_add_f32 v[32:33], v[40:41], v[32:33] neg_lo:[0,1] neg_hi:[0,1]
	;; [unrolled: 1-line block ×3, first 2 shown]
	v_pk_fma_f32 v[62:63], v[38:39], 2.0, v[64:65] op_sel_hi:[1,0,1] neg_lo:[0,0,1] neg_hi:[0,0,1]
	v_pk_fma_f32 v[34:35], v[34:35], 2.0, v[36:37] op_sel_hi:[1,0,1] neg_lo:[0,0,1] neg_hi:[0,0,1]
	;; [unrolled: 1-line block ×3, first 2 shown]
	s_barrier
	ds_write_b128 v69, v[62:65]
	ds_write_b128 v70, v[30:33]
	s_and_saveexec_b64 s[0:1], s[6:7]
	s_cbranch_execz .LBB0_23
; %bb.22:
	ds_write_b128 v68, v[34:37]
.LBB0_23:
	s_or_b64 exec, exec, s[0:1]
	s_waitcnt lgkmcnt(0)
	s_barrier
	ds_read_b64 v[72:73], v42
	ds_read_b64 v[82:83], v42 offset:2800
	ds_read_b64 v[78:79], v42 offset:5600
	v_mov_b32_e32 v74, v0
	v_mov_b32_e32 v75, v0
	;; [unrolled: 1-line block ×8, first 2 shown]
	s_and_saveexec_b64 s[0:1], s[2:3]
	s_cbranch_execz .LBB0_25
; %bb.24:
	ds_read_b64 v[32:33], v42 offset:1680
	ds_read_b64 v[34:35], v42 offset:4480
	;; [unrolled: 1-line block ×3, first 2 shown]
.LBB0_25:
	s_or_b64 exec, exec, s[0:1]
	s_waitcnt lgkmcnt(1)
	v_pk_mul_f32 v[90:91], v[0:1], v[34:35] op_sel:[0,1]
	v_pk_mul_f32 v[76:77], v[76:77], v[82:83]
	v_pk_fma_f32 v[86:87], v[0:1], v[34:35], v[90:91] op_sel:[0,0,1] op_sel_hi:[1,1,0]
	v_pk_fma_f32 v[0:1], v[0:1], v[34:35], v[90:91] op_sel:[0,0,1] op_sel_hi:[1,0,0] neg_lo:[1,0,0] neg_hi:[1,0,0]
	v_pk_fma_f32 v[90:91], v[74:75], v[82:83], v[76:77] op_sel:[0,0,1] op_sel_hi:[1,1,0]
	v_pk_fma_f32 v[74:75], v[74:75], v[82:83], v[76:77] op_sel:[0,0,1] op_sel_hi:[1,1,0] neg_lo:[0,0,1] neg_hi:[0,0,1]
	s_waitcnt lgkmcnt(0)
	v_pk_mul_f32 v[92:93], v[2:3], v[36:37] op_sel:[0,1]
	v_mov_b32_e32 v91, v75
	v_pk_mul_f32 v[74:75], v[84:85], v[78:79]
	v_mov_b32_e32 v87, v1
	v_pk_fma_f32 v[0:1], v[2:3], v[36:37], v[92:93] op_sel:[0,0,1] op_sel_hi:[1,1,0]
	v_pk_fma_f32 v[2:3], v[2:3], v[36:37], v[92:93] op_sel:[0,0,1] op_sel_hi:[1,0,0] neg_lo:[1,0,0] neg_hi:[1,0,0]
	v_pk_fma_f32 v[76:77], v[80:81], v[78:79], v[74:75] op_sel:[0,0,1] op_sel_hi:[1,1,0]
	v_pk_fma_f32 v[74:75], v[80:81], v[78:79], v[74:75] op_sel:[0,0,1] op_sel_hi:[1,1,0] neg_lo:[0,0,1] neg_hi:[0,0,1]
	v_mov_b32_e32 v1, v3
	v_mov_b32_e32 v77, v75
	v_pk_add_f32 v[74:75], v[72:73], v[90:91]
	v_pk_add_f32 v[2:3], v[0:1], v[86:87]
	v_pk_add_f32 v[34:35], v[86:87], v[0:1] neg_lo:[0,1] neg_hi:[0,1]
	s_mov_b32 s0, 0x3f5db3d7
	v_pk_add_f32 v[74:75], v[74:75], v[76:77]
	v_pk_add_f32 v[78:79], v[90:91], v[76:77]
	v_pk_add_f32 v[76:77], v[90:91], v[76:77] neg_lo:[0,1] neg_hi:[0,1]
	v_pk_fma_f32 v[2:3], v[2:3], 0.5, v[32:33] op_sel_hi:[1,0,1] neg_lo:[1,0,0] neg_hi:[1,0,0]
	v_pk_mul_f32 v[36:37], v[34:35], s[0:1] op_sel_hi:[1,0]
	v_pk_fma_f32 v[72:73], v[78:79], 0.5, v[72:73] op_sel_hi:[1,0,1] neg_lo:[1,0,0] neg_hi:[1,0,0]
	v_pk_mul_f32 v[76:77], v[76:77], s[0:1] op_sel_hi:[1,0]
	v_pk_add_f32 v[34:35], v[2:3], v[36:37] op_sel:[0,1] op_sel_hi:[1,0]
	v_pk_add_f32 v[36:37], v[2:3], v[36:37] op_sel:[0,1] op_sel_hi:[1,0] neg_lo:[0,1] neg_hi:[0,1]
	v_pk_add_f32 v[78:79], v[72:73], v[76:77] op_sel:[0,1] op_sel_hi:[1,0] neg_lo:[0,1] neg_hi:[0,1]
	v_pk_add_f32 v[72:73], v[72:73], v[76:77] op_sel:[0,1] op_sel_hi:[1,0]
	v_mov_b32_e32 v70, v8
	v_mov_b32_e32 v71, v8
	;; [unrolled: 1-line block ×29, first 2 shown]
	s_barrier
	ds_write2_b64 v47, v[74:75], v[76:77] offset1:2
	ds_write_b64 v47, v[72:73] offset:32
	s_and_saveexec_b64 s[0:1], s[2:3]
	s_cbranch_execz .LBB0_27
; %bb.26:
	v_mul_u32_u24_e32 v34, 6, v49
	v_or_b32_e32 v34, v34, v43
	v_pk_add_f32 v[32:33], v[32:33], v[86:87]
	v_lshlrev_b32_e32 v34, 3, v34
	v_pk_add_f32 v[0:1], v[0:1], v[32:33]
	v_mov_b32_e32 v37, v35
	ds_write2_b64 v34, v[0:1], v[36:37] offset1:2
	ds_write_b64 v34, v[2:3] offset:32
.LBB0_27:
	s_or_b64 exec, exec, s[0:1]
	s_waitcnt lgkmcnt(0)
	s_barrier
	ds_read2_b64 v[32:35], v42 offset1:210
	v_add_u32_e32 v43, 0xc00, v42
	ds_read2_b64 v[72:75], v43 offset0:36 offset1:246
	ds_read_b64 v[0:1], v42 offset:6720
	s_mov_b32 s0, 0x3f737871
	s_mov_b32 s2, 0x3f167918
	s_waitcnt lgkmcnt(2)
	v_pk_mul_f32 v[8:9], v[8:9], v[34:35]
	s_waitcnt lgkmcnt(1)
	v_pk_mul_f32 v[4:5], v[4:5], v[74:75]
	v_pk_fma_f32 v[36:37], v[70:71], v[34:35], v[8:9] op_sel:[0,0,1] op_sel_hi:[1,1,0]
	v_pk_fma_f32 v[8:9], v[70:71], v[34:35], v[8:9] op_sel:[0,0,1] op_sel_hi:[1,1,0] neg_lo:[0,0,1] neg_hi:[0,0,1]
	s_mov_b32 s14, 0x3e9e377a
	v_mov_b32_e32 v37, v9
	v_pk_mul_f32 v[8:9], v[10:11], v[72:73]
	s_waitcnt lgkmcnt(0)
	v_pk_fma_f32 v[10:11], v[68:69], v[72:73], v[8:9] op_sel:[0,0,1] op_sel_hi:[1,1,0]
	v_pk_fma_f32 v[8:9], v[68:69], v[72:73], v[8:9] op_sel:[0,0,1] op_sel_hi:[1,1,0] neg_lo:[0,0,1] neg_hi:[0,0,1]
	s_barrier
	v_mov_b32_e32 v11, v9
	v_pk_fma_f32 v[8:9], v[66:67], v[74:75], v[4:5] op_sel:[0,0,1] op_sel_hi:[1,1,0]
	v_pk_fma_f32 v[4:5], v[66:67], v[74:75], v[4:5] op_sel:[0,0,1] op_sel_hi:[1,1,0] neg_lo:[0,0,1] neg_hi:[0,0,1]
	v_pk_add_f32 v[70:71], v[36:37], v[10:11] neg_lo:[0,1] neg_hi:[0,1]
	v_mov_b32_e32 v9, v5
	v_pk_mul_f32 v[4:5], v[6:7], v[0:1]
	v_pk_add_f32 v[66:67], v[10:11], v[8:9] neg_lo:[0,1] neg_hi:[0,1]
	v_pk_fma_f32 v[6:7], v[64:65], v[0:1], v[4:5] op_sel:[0,0,1] op_sel_hi:[1,1,0]
	v_pk_fma_f32 v[0:1], v[64:65], v[0:1], v[4:5] op_sel:[0,0,1] op_sel_hi:[1,1,0] neg_lo:[0,0,1] neg_hi:[0,0,1]
	v_pk_add_f32 v[4:5], v[10:11], v[8:9]
	v_mov_b32_e32 v7, v1
	v_pk_add_f32 v[34:35], v[36:37], v[6:7] neg_lo:[0,1] neg_hi:[0,1]
	v_pk_fma_f32 v[4:5], v[4:5], 0.5, v[32:33] op_sel_hi:[1,0,1] neg_lo:[1,0,0] neg_hi:[1,0,0]
	v_pk_mul_f32 v[64:65], v[34:35], s[0:1] op_sel_hi:[1,0]
	v_pk_add_f32 v[72:73], v[6:7], v[8:9] neg_lo:[0,1] neg_hi:[0,1]
	v_pk_add_f32 v[0:1], v[32:33], v[36:37]
	v_pk_mul_f32 v[68:69], v[66:67], s[2:3] op_sel_hi:[1,0]
	v_pk_add_f32 v[70:71], v[70:71], v[72:73]
	v_pk_add_f32 v[72:73], v[4:5], v[64:65] op_sel:[0,1] op_sel_hi:[1,0] neg_lo:[0,1] neg_hi:[0,1]
	v_pk_add_f32 v[4:5], v[4:5], v[64:65] op_sel:[0,1] op_sel_hi:[1,0]
	v_pk_add_f32 v[0:1], v[0:1], v[10:11]
	v_pk_add_f32 v[4:5], v[4:5], v[68:69] op_sel:[0,1] op_sel_hi:[1,0]
	v_pk_add_f32 v[64:65], v[72:73], v[68:69] op_sel:[0,1] op_sel_hi:[1,0] neg_lo:[0,1] neg_hi:[0,1]
	v_pk_add_f32 v[0:1], v[0:1], v[8:9]
	v_mov_b32_e32 v68, v64
	v_mov_b32_e32 v69, v5
	v_pk_add_f32 v[0:1], v[0:1], v[6:7]
	v_pk_fma_f32 v[68:69], v[70:71], s[14:15], v[68:69] op_sel_hi:[1,0,1]
	ds_write2_b64 v88, v[0:1], v[68:69] offset1:6
	v_pk_add_f32 v[0:1], v[36:37], v[6:7]
	v_pk_add_f32 v[10:11], v[10:11], v[36:37] neg_lo:[0,1] neg_hi:[0,1]
	v_pk_fma_f32 v[0:1], v[0:1], 0.5, v[32:33] op_sel_hi:[1,0,1] neg_lo:[1,0,0] neg_hi:[1,0,0]
	v_pk_add_f32 v[6:7], v[8:9], v[6:7] neg_lo:[0,1] neg_hi:[0,1]
	v_pk_mul_f32 v[8:9], v[66:67], s[0:1] op_sel_hi:[1,0]
	v_pk_add_f32 v[6:7], v[10:11], v[6:7]
	v_pk_mul_f32 v[10:11], v[34:35], s[2:3] op_sel_hi:[1,0]
	v_pk_add_f32 v[32:33], v[0:1], v[8:9] op_sel:[0,1] op_sel_hi:[1,0]
	v_pk_add_f32 v[0:1], v[0:1], v[8:9] op_sel:[0,1] op_sel_hi:[1,0] neg_lo:[0,1] neg_hi:[0,1]
	v_pk_add_f32 v[8:9], v[32:33], v[10:11] op_sel:[0,1] op_sel_hi:[1,0] neg_lo:[0,1] neg_hi:[0,1]
	v_pk_add_f32 v[0:1], v[0:1], v[10:11] op_sel:[0,1] op_sel_hi:[1,0]
	v_mov_b32_e32 v10, v8
	v_mov_b32_e32 v11, v1
	;; [unrolled: 1-line block ×3, first 2 shown]
	v_pk_fma_f32 v[10:11], v[6:7], s[14:15], v[10:11] op_sel_hi:[1,0,1]
	v_pk_fma_f32 v[0:1], v[6:7], s[14:15], v[0:1] op_sel_hi:[1,0,1]
	v_mov_b32_e32 v5, v65
	ds_write2_b64 v88, v[10:11], v[0:1] offset0:12 offset1:18
	v_pk_fma_f32 v[0:1], v[70:71], s[14:15], v[4:5] op_sel_hi:[1,0,1]
	ds_write_b64 v88, v[0:1] offset:192
	s_waitcnt lgkmcnt(0)
	s_barrier
	ds_read2_b64 v[8:11], v42 offset1:210
	ds_read2_b64 v[4:7], v43 offset0:36 offset1:246
	ds_read_b64 v[0:1], v42 offset:6720
	s_waitcnt lgkmcnt(0)
	s_barrier
	v_pk_mul_f32 v[16:17], v[16:17], v[10:11]
	s_nop 0
	v_pk_fma_f32 v[32:33], v[62:63], v[10:11], v[16:17] op_sel:[0,0,1] op_sel_hi:[1,1,0]
	v_pk_fma_f32 v[10:11], v[62:63], v[10:11], v[16:17] op_sel:[0,0,1] op_sel_hi:[1,1,0] neg_lo:[0,0,1] neg_hi:[0,0,1]
	s_nop 0
	v_mov_b32_e32 v33, v11
	v_pk_mul_f32 v[10:11], v[18:19], v[4:5]
	s_nop 0
	v_pk_fma_f32 v[16:17], v[40:41], v[4:5], v[10:11] op_sel:[0,0,1] op_sel_hi:[1,1,0]
	v_pk_fma_f32 v[4:5], v[40:41], v[4:5], v[10:11] op_sel:[0,0,1] op_sel_hi:[1,1,0] neg_lo:[0,0,1] neg_hi:[0,0,1]
	s_nop 0
	v_mov_b32_e32 v17, v5
	v_pk_mul_f32 v[4:5], v[12:13], v[6:7]
	v_pk_add_f32 v[34:35], v[32:33], v[16:17] neg_lo:[0,1] neg_hi:[0,1]
	v_pk_fma_f32 v[10:11], v[38:39], v[6:7], v[4:5] op_sel:[0,0,1] op_sel_hi:[1,1,0]
	v_pk_fma_f32 v[4:5], v[38:39], v[6:7], v[4:5] op_sel:[0,0,1] op_sel_hi:[1,1,0] neg_lo:[0,0,1] neg_hi:[0,0,1]
	s_nop 0
	v_mov_b32_e32 v11, v5
	v_pk_mul_f32 v[4:5], v[14:15], v[0:1]
	v_pk_add_f32 v[18:19], v[16:17], v[10:11] neg_lo:[0,1] neg_hi:[0,1]
	v_pk_fma_f32 v[12:13], v[30:31], v[0:1], v[4:5] op_sel:[0,0,1] op_sel_hi:[1,1,0]
	v_pk_fma_f32 v[0:1], v[30:31], v[0:1], v[4:5] op_sel:[0,0,1] op_sel_hi:[1,1,0] neg_lo:[0,0,1] neg_hi:[0,0,1]
	v_pk_mul_f32 v[30:31], v[18:19], s[2:3] op_sel_hi:[1,0]
	v_mov_b32_e32 v13, v1
	v_pk_add_f32 v[0:1], v[8:9], v[32:33]
	v_pk_add_f32 v[14:15], v[32:33], v[12:13] neg_lo:[0,1] neg_hi:[0,1]
	v_pk_add_f32 v[0:1], v[0:1], v[16:17]
	v_pk_mul_f32 v[6:7], v[14:15], s[0:1] op_sel_hi:[1,0]
	v_pk_add_f32 v[0:1], v[0:1], v[10:11]
	v_pk_add_f32 v[36:37], v[12:13], v[10:11] neg_lo:[0,1] neg_hi:[0,1]
	v_pk_add_f32 v[4:5], v[0:1], v[12:13]
	v_pk_add_f32 v[0:1], v[16:17], v[10:11]
	;; [unrolled: 1-line block ×3, first 2 shown]
	v_pk_fma_f32 v[0:1], v[0:1], 0.5, v[8:9] op_sel_hi:[1,0,1] neg_lo:[1,0,0] neg_hi:[1,0,0]
	v_pk_mul_f32 v[18:19], v[18:19], s[0:1] op_sel_hi:[1,0]
	v_pk_add_f32 v[36:37], v[0:1], v[6:7] op_sel:[0,1] op_sel_hi:[1,0] neg_lo:[0,1] neg_hi:[0,1]
	v_pk_add_f32 v[0:1], v[0:1], v[6:7] op_sel:[0,1] op_sel_hi:[1,0]
	v_pk_mul_f32 v[14:15], v[14:15], s[2:3] op_sel_hi:[1,0]
	v_pk_add_f32 v[0:1], v[0:1], v[30:31] op_sel:[0,1] op_sel_hi:[1,0]
	v_pk_add_f32 v[30:31], v[36:37], v[30:31] op_sel:[0,1] op_sel_hi:[1,0] neg_lo:[0,1] neg_hi:[0,1]
	v_mov_b32_e32 v7, v1
	v_mov_b32_e32 v6, v30
	;; [unrolled: 1-line block ×3, first 2 shown]
	v_pk_add_f32 v[30:31], v[32:33], v[12:13]
	v_pk_add_f32 v[16:17], v[16:17], v[32:33] neg_lo:[0,1] neg_hi:[0,1]
	v_pk_fma_f32 v[8:9], v[30:31], 0.5, v[8:9] op_sel_hi:[1,0,1] neg_lo:[1,0,0] neg_hi:[1,0,0]
	v_pk_add_f32 v[10:11], v[10:11], v[12:13] neg_lo:[0,1] neg_hi:[0,1]
	v_pk_add_f32 v[12:13], v[8:9], v[18:19] op_sel:[0,1] op_sel_hi:[1,0]
	v_pk_add_f32 v[8:9], v[8:9], v[18:19] op_sel:[0,1] op_sel_hi:[1,0] neg_lo:[0,1] neg_hi:[0,1]
	v_pk_add_f32 v[10:11], v[16:17], v[10:11]
	v_pk_add_f32 v[16:17], v[8:9], v[14:15] op_sel:[0,1] op_sel_hi:[1,0]
	v_pk_add_f32 v[12:13], v[12:13], v[14:15] op_sel:[0,1] op_sel_hi:[1,0] neg_lo:[0,1] neg_hi:[0,1]
	v_mov_b32_e32 v9, v17
	v_mov_b32_e32 v8, v12
	;; [unrolled: 1-line block ×3, first 2 shown]
	v_pk_fma_f32 v[6:7], v[34:35], s[14:15], v[6:7] op_sel_hi:[1,0,1]
	v_pk_fma_f32 v[0:1], v[34:35], s[14:15], v[0:1] op_sel_hi:[1,0,1]
	;; [unrolled: 1-line block ×4, first 2 shown]
	ds_write2_b64 v89, v[4:5], v[6:7] offset1:30
	ds_write2_b64 v89, v[8:9], v[10:11] offset0:60 offset1:90
	ds_write_b64 v89, v[0:1] offset:960
	s_waitcnt lgkmcnt(0)
	s_barrier
	s_and_saveexec_b64 s[0:1], s[4:5]
	s_cbranch_execz .LBB0_29
; %bb.28:
	v_add_u32_e32 v0, 0x800, v42
	ds_read2_b64 v[8:11], v0 offset0:44 offset1:194
	v_add_u32_e32 v0, 0x1000, v42
	ds_read2_b64 v[4:7], v42 offset1:150
	ds_read2_b64 v[0:3], v0 offset0:88 offset1:238
	ds_read_b64 v[60:61], v42 offset:7200
.LBB0_29:
	s_or_b64 exec, exec, s[0:1]
	s_and_saveexec_b64 s[0:1], s[4:5]
	s_cbranch_execz .LBB0_31
; %bb.30:
	v_mov_b32_e32 v14, v29
	v_mov_b32_e32 v15, v28
	s_waitcnt lgkmcnt(3)
	v_pk_mul_f32 v[40:41], v[14:15], v[10:11]
	v_mov_b32_e32 v34, v11
	v_mov_b32_e32 v40, v41
	v_pk_mul_f32 v[28:29], v[28:29], v[10:11]
	v_pk_mul_f32 v[34:35], v[14:15], v[34:35]
	v_pk_fma_f32 v[10:11], v[14:15], v[10:11], v[40:41] neg_lo:[1,0,0] neg_hi:[1,0,0]
	s_waitcnt lgkmcnt(1)
	v_pk_mul_f32 v[14:15], v[58:59], v[0:1]
	v_mov_b32_e32 v12, v59
	v_mov_b32_e32 v13, v58
	s_waitcnt lgkmcnt(0)
	v_pk_mul_f32 v[18:19], v[26:27], v[60:61] op_sel_hi:[1,0]
	v_mov_b32_e32 v30, v61
	v_mov_b32_e32 v14, v15
	v_pk_mul_f32 v[16:17], v[20:21], v[6:7] op_sel_hi:[1,0]
	v_pk_mul_f32 v[12:13], v[12:13], v[0:1]
	v_mov_b32_e32 v32, v1
	v_pk_fma_f32 v[0:1], v[58:59], v[0:1], v[14:15] neg_lo:[1,0,0] neg_hi:[1,0,0]
	v_pk_fma_f32 v[14:15], v[26:27], v[30:31], v[18:19] op_sel:[0,0,1] op_sel_hi:[1,0,0] neg_lo:[0,0,1] neg_hi:[0,0,1]
	v_pk_fma_f32 v[18:19], v[26:27], v[30:31], v[18:19] op_sel:[0,0,1] op_sel_hi:[1,0,0]
	v_pk_mul_f32 v[38:39], v[24:25], v[2:3] op_sel_hi:[1,0]
	v_mov_b32_e32 v2, v3
	v_mov_b32_e32 v15, v19
	v_pk_fma_f32 v[18:19], v[20:21], v[6:7], v[16:17] op_sel:[0,1,1] op_sel_hi:[1,1,0] neg_lo:[0,0,1] neg_hi:[0,0,1]
	v_pk_fma_f32 v[6:7], v[20:21], v[6:7], v[16:17] op_sel:[0,1,1] op_sel_hi:[1,1,0]
	v_pk_mul_f32 v[36:37], v[22:23], v[8:9] op_sel_hi:[1,0]
	v_mov_b32_e32 v19, v7
	v_pk_fma_f32 v[6:7], v[24:25], v[2:3], v[38:39] op_sel:[0,0,1] op_sel_hi:[1,0,0] neg_lo:[0,0,1] neg_hi:[0,0,1]
	v_pk_fma_f32 v[2:3], v[24:25], v[2:3], v[38:39] op_sel:[0,0,1] op_sel_hi:[1,0,0]
	v_pk_mul_f32 v[32:33], v[58:59], v[32:33]
	v_mov_b32_e32 v7, v3
	v_pk_fma_f32 v[2:3], v[22:23], v[8:9], v[36:37] op_sel:[0,1,1] op_sel_hi:[1,1,0] neg_lo:[0,0,1] neg_hi:[0,0,1]
	v_pk_fma_f32 v[8:9], v[22:23], v[8:9], v[36:37] op_sel:[0,1,1] op_sel_hi:[1,1,0]
	v_mov_b32_e32 v13, v14
	v_mov_b32_e32 v3, v9
	;; [unrolled: 1-line block ×5, first 2 shown]
	v_pk_add_f32 v[16:17], v[6:7], v[2:3]
	v_pk_add_f32 v[22:23], v[2:3], v[6:7] neg_lo:[0,1] neg_hi:[0,1]
	v_pk_add_f32 v[12:13], v[12:13], v[32:33]
	v_pk_add_f32 v[2:3], v[28:29], v[34:35]
	v_mov_b32_e32 v1, v12
	v_mov_b32_e32 v11, v2
	v_pk_add_f32 v[20:21], v[18:19], v[14:15] neg_lo:[0,1] neg_hi:[0,1]
	v_pk_add_f32 v[6:7], v[0:1], v[10:11] neg_lo:[0,1] neg_hi:[0,1]
	s_mov_b32 s2, 0xbeae86e6
	v_pk_add_f32 v[8:9], v[14:15], v[18:19]
	v_mov_b32_e32 v18, v6
	s_mov_b32 s3, 0x3f08b237
	v_pk_add_f32 v[24:25], v[6:7], v[22:23]
	v_mov_b32_e32 v26, v6
	v_mov_b32_e32 v27, v21
	;; [unrolled: 1-line block ×6, first 2 shown]
	v_pk_add_f32 v[6:7], v[26:27], v[6:7] neg_lo:[0,1] neg_hi:[0,1]
	s_mov_b32 s14, s3
	s_mov_b32 s15, s2
	v_mov_b32_e32 v26, v17
	v_mov_b32_e32 v27, v10
	;; [unrolled: 1-line block ×4, first 2 shown]
	v_pk_add_f32 v[14:15], v[14:15], v[18:19] neg_lo:[0,1] neg_hi:[0,1]
	v_pk_mul_f32 v[6:7], v[6:7], s[14:15]
	v_pk_add_f32 v[0:1], v[26:27], v[10:11]
	v_pk_add_f32 v[10:11], v[2:3], v[12:13]
	v_pk_mul_f32 v[18:19], v[14:15], s[2:3]
	v_pk_fma_f32 v[14:15], v[14:15], s[2:3], v[6:7]
	v_pk_add_f32 v[26:27], v[0:1], v[10:11]
	v_mov_b32_e32 v0, v9
	v_mov_b32_e32 v11, v3
	s_mov_b32 s2, 0x3f4a47b2
	v_pk_add_f32 v[28:29], v[0:1], v[10:11] neg_lo:[0,1] neg_hi:[0,1]
	s_mov_b32 s3, 0x3d64c772
	v_mov_b32_e32 v11, v13
	v_mov_b32_e32 v0, v17
	v_pk_add_f32 v[0:1], v[10:11], v[0:1] neg_lo:[0,1] neg_hi:[0,1]
	s_mov_b32 s14, s3
	s_mov_b32 s15, s2
	v_pk_mul_f32 v[0:1], v[0:1], s[14:15]
	v_pk_add_f32 v[4:5], v[4:5], v[26:27]
	v_pk_mul_f32 v[30:31], v[28:29], s[2:3]
	v_pk_fma_f32 v[10:11], v[28:29], s[2:3], v[0:1]
	s_mov_b32 s2, 0xbf955555
	v_pk_add_f32 v[24:25], v[24:25], v[20:21]
	s_mov_b32 s4, 0xbee1c552
	v_pk_fma_f32 v[26:27], v[26:27], s[2:3], v[4:5] op_sel_hi:[1,0,1]
	v_pk_fma_f32 v[14:15], v[24:25], s[4:5], v[14:15] op_sel_hi:[1,0,1]
	v_pk_add_f32 v[10:11], v[10:11], v[26:27]
	v_mov_b32_e32 v2, v17
	v_pk_add_f32 v[28:29], v[10:11], v[14:15]
	v_pk_add_f32 v[10:11], v[10:11], v[14:15] neg_lo:[0,1] neg_hi:[0,1]
	v_mov_b32_e32 v14, v28
	v_mov_b32_e32 v15, v11
	;; [unrolled: 1-line block ×3, first 2 shown]
	ds_write2_b64 v42, v[4:5], v[14:15] offset1:150
	v_pk_add_f32 v[4:5], v[22:23], v[20:21] neg_lo:[0,1] neg_hi:[0,1]
	s_mov_b32 s2, 0xbf5ff5aa
	v_mov_b32_e32 v14, v18
	v_mov_b32_e32 v15, v7
	v_pk_add_f32 v[2:3], v[2:3], v[12:13] neg_lo:[0,1] neg_hi:[0,1]
	s_mov_b32 s14, 0x3f3bfb3b
	v_mov_b32_e32 v8, v30
	v_mov_b32_e32 v9, v1
	;; [unrolled: 1-line block ×4, first 2 shown]
	v_pk_fma_f32 v[14:15], v[4:5], s[2:3], v[14:15] op_sel_hi:[1,0,1] neg_lo:[1,0,1] neg_hi:[1,0,1]
	v_pk_fma_f32 v[8:9], v[2:3], s[14:15], v[8:9] op_sel_hi:[1,0,1] neg_lo:[1,0,1] neg_hi:[1,0,1]
	;; [unrolled: 1-line block ×4, first 2 shown]
	v_pk_fma_f32 v[14:15], v[24:25], s[4:5], v[14:15] op_sel_hi:[1,0,1]
	v_pk_add_f32 v[8:9], v[8:9], v[26:27]
	v_pk_fma_f32 v[4:5], v[24:25], s[4:5], v[4:5] op_sel_hi:[1,0,1]
	v_pk_add_f32 v[0:1], v[0:1], v[26:27]
	v_pk_add_f32 v[12:13], v[8:9], v[14:15]
	v_pk_add_f32 v[8:9], v[8:9], v[14:15] neg_lo:[0,1] neg_hi:[0,1]
	v_pk_add_f32 v[2:3], v[0:1], v[4:5] neg_lo:[0,1] neg_hi:[0,1]
	v_pk_add_f32 v[0:1], v[0:1], v[4:5]
	v_mov_b32_e32 v14, v12
	v_mov_b32_e32 v15, v9
	;; [unrolled: 1-line block ×4, first 2 shown]
	v_add_u32_e32 v1, 0x800, v42
	ds_write2_b64 v1, v[14:15], v[4:5] offset0:44 offset1:194
	v_mov_b32_e32 v1, v3
	v_mov_b32_e32 v9, v13
	v_add_u32_e32 v2, 0x1000, v42
	v_mov_b32_e32 v11, v29
	ds_write2_b64 v2, v[0:1], v[8:9] offset0:88 offset1:238
	ds_write_b64 v42, v[10:11] offset:7200
.LBB0_31:
	s_or_b64 exec, exec, s[0:1]
	s_waitcnt lgkmcnt(0)
	s_barrier
	ds_read2_b64 v[0:3], v42 offset1:210
	v_mad_u64_u32 v[10:11], s[0:1], s10, v48, 0
	v_mov_b32_e32 v4, v11
	v_mad_u64_u32 v[4:5], s[0:1], s11, v48, v[4:5]
	v_mov_b32_e32 v11, v4
	s_waitcnt lgkmcnt(0)
	v_mul_f32_e32 v4, v57, v1
	v_fmac_f32_e32 v4, v56, v0
	v_mul_f32_e32 v0, v57, v0
	s_mov_b32 s0, 0x859b8cec
	v_fma_f32 v0, v56, v1, -v0
	s_mov_b32 s1, 0x3f4f3526
	v_cvt_f64_f32_e32 v[0:1], v0
	v_cvt_f64_f32_e32 v[4:5], v4
	v_mul_f64 v[0:1], v[0:1], s[0:1]
	v_mul_f64 v[4:5], v[4:5], s[0:1]
	v_cvt_f32_f64_e32 v13, v[0:1]
	v_mad_u64_u32 v[0:1], s[2:3], s8, v46, 0
	v_cvt_f32_f64_e32 v12, v[4:5]
	v_mov_b32_e32 v4, v1
	v_mad_u64_u32 v[4:5], s[2:3], s9, v46, v[4:5]
	v_mov_b32_e32 v1, v4
	v_add_u32_e32 v4, 0x1000, v42
	ds_read2_b64 v[4:7], v4 offset0:13 offset1:223
	v_mov_b32_e32 v8, s12
	v_mov_b32_e32 v9, s13
	v_lshl_add_u64 v[8:9], v[10:11], 3, v[8:9]
	v_lshl_add_u64 v[0:1], v[0:1], 3, v[8:9]
	s_waitcnt lgkmcnt(0)
	v_mul_f32_e32 v8, v55, v5
	v_fmac_f32_e32 v8, v54, v4
	v_mul_f32_e32 v4, v55, v4
	v_fma_f32 v4, v54, v5, -v4
	v_cvt_f64_f32_e32 v[8:9], v8
	v_cvt_f64_f32_e32 v[4:5], v4
	v_mul_f64 v[8:9], v[8:9], s[0:1]
	v_mul_f64 v[4:5], v[4:5], s[0:1]
	v_cvt_f32_f64_e32 v8, v[8:9]
	v_cvt_f32_f64_e32 v9, v[4:5]
	v_mul_f32_e32 v4, v53, v3
	v_fmac_f32_e32 v4, v52, v2
	v_mul_f32_e32 v2, v53, v2
	v_fma_f32 v2, v52, v3, -v2
	v_cvt_f64_f32_e32 v[4:5], v4
	v_cvt_f64_f32_e32 v[2:3], v2
	v_mul_f64 v[4:5], v[4:5], s[0:1]
	v_mul_f64 v[2:3], v[2:3], s[0:1]
	v_cvt_f32_f64_e32 v4, v[4:5]
	v_cvt_f32_f64_e32 v5, v[2:3]
	v_mul_f32_e32 v2, v51, v7
	s_mul_i32 s2, s9, 0x20d
	s_mul_hi_u32 s3, s8, 0x20d
	v_fmac_f32_e32 v2, v50, v6
	s_add_i32 s3, s3, s2
	s_mul_i32 s2, s8, 0x20d
	s_mul_hi_u32 s5, s8, 0xfffffec5
	v_cvt_f64_f32_e32 v[2:3], v2
	s_lshl_b64 s[12:13], s[2:3], 3
	s_mul_i32 s4, s9, 0xfffffec5
	s_sub_i32 s5, s5, s8
	v_mul_f64 v[2:3], v[2:3], s[0:1]
	global_store_dwordx2 v[0:1], v[12:13], off
	v_lshl_add_u64 v[0:1], v[0:1], 0, s[12:13]
	s_add_i32 s5, s5, s4
	s_mul_i32 s4, s8, 0xfffffec5
	v_cvt_f32_f64_e32 v2, v[2:3]
	v_mul_f32_e32 v3, v51, v6
	global_store_dwordx2 v[0:1], v[8:9], off
	v_lshl_add_u64 v[0:1], s[4:5], 3, v[0:1]
	v_fma_f32 v3, v50, v7, -v3
	global_store_dwordx2 v[0:1], v[4:5], off
	v_cvt_f64_f32_e32 v[4:5], v3
	v_mul_f64 v[4:5], v[4:5], s[0:1]
	s_movk_i32 s10, 0x1000
	v_cvt_f32_f64_e32 v3, v[4:5]
	v_lshl_add_u64 v[0:1], v[0:1], 0, s[12:13]
	global_store_dwordx2 v[0:1], v[2:3], off
	s_and_b64 exec, exec, s[6:7]
	s_cbranch_execz .LBB0_33
; %bb.32:
	global_load_dwordx2 v[2:3], v[44:45], off offset:3360
	v_add_co_u32_e32 v4, vcc, s10, v44
	ds_read_b64 v[6:7], v42 offset:3360
	ds_read_b64 v[8:9], v42 offset:7560
	v_addc_co_u32_e32 v5, vcc, 0, v45, vcc
	global_load_dwordx2 v[4:5], v[4:5], off offset:3464
	v_lshl_add_u64 v[0:1], s[4:5], 3, v[0:1]
	s_waitcnt vmcnt(1) lgkmcnt(1)
	v_mul_f32_e32 v10, v7, v3
	v_mul_f32_e32 v3, v6, v3
	v_fmac_f32_e32 v10, v6, v2
	v_fma_f32 v6, v2, v7, -v3
	v_cvt_f64_f32_e32 v[2:3], v10
	v_cvt_f64_f32_e32 v[6:7], v6
	v_mul_f64 v[2:3], v[2:3], s[0:1]
	s_waitcnt vmcnt(0) lgkmcnt(0)
	v_mul_f32_e32 v10, v9, v5
	v_mul_f32_e32 v5, v8, v5
	v_mul_f64 v[6:7], v[6:7], s[0:1]
	v_fmac_f32_e32 v10, v8, v4
	v_fma_f32 v8, v4, v9, -v5
	v_cvt_f32_f64_e32 v2, v[2:3]
	v_cvt_f32_f64_e32 v3, v[6:7]
	v_cvt_f64_f32_e32 v[4:5], v10
	v_cvt_f64_f32_e32 v[6:7], v8
	global_store_dwordx2 v[0:1], v[2:3], off
	v_mul_f64 v[2:3], v[4:5], s[0:1]
	v_mul_f64 v[4:5], v[6:7], s[0:1]
	v_cvt_f32_f64_e32 v2, v[2:3]
	v_cvt_f32_f64_e32 v3, v[4:5]
	v_lshl_add_u64 v[0:1], s[2:3], 3, v[0:1]
	global_store_dwordx2 v[0:1], v[2:3], off
.LBB0_33:
	s_endpgm
	.section	.rodata,"a",@progbits
	.p2align	6, 0x0
	.amdhsa_kernel bluestein_single_fwd_len1050_dim1_sp_op_CI_CI
		.amdhsa_group_segment_fixed_size 8400
		.amdhsa_private_segment_fixed_size 0
		.amdhsa_kernarg_size 104
		.amdhsa_user_sgpr_count 2
		.amdhsa_user_sgpr_dispatch_ptr 0
		.amdhsa_user_sgpr_queue_ptr 0
		.amdhsa_user_sgpr_kernarg_segment_ptr 1
		.amdhsa_user_sgpr_dispatch_id 0
		.amdhsa_user_sgpr_kernarg_preload_length 0
		.amdhsa_user_sgpr_kernarg_preload_offset 0
		.amdhsa_user_sgpr_private_segment_size 0
		.amdhsa_uses_dynamic_stack 0
		.amdhsa_enable_private_segment 0
		.amdhsa_system_sgpr_workgroup_id_x 1
		.amdhsa_system_sgpr_workgroup_id_y 0
		.amdhsa_system_sgpr_workgroup_id_z 0
		.amdhsa_system_sgpr_workgroup_info 0
		.amdhsa_system_vgpr_workitem_id 0
		.amdhsa_next_free_vgpr 104
		.amdhsa_next_free_sgpr 24
		.amdhsa_accum_offset 104
		.amdhsa_reserve_vcc 1
		.amdhsa_float_round_mode_32 0
		.amdhsa_float_round_mode_16_64 0
		.amdhsa_float_denorm_mode_32 3
		.amdhsa_float_denorm_mode_16_64 3
		.amdhsa_dx10_clamp 1
		.amdhsa_ieee_mode 1
		.amdhsa_fp16_overflow 0
		.amdhsa_tg_split 0
		.amdhsa_exception_fp_ieee_invalid_op 0
		.amdhsa_exception_fp_denorm_src 0
		.amdhsa_exception_fp_ieee_div_zero 0
		.amdhsa_exception_fp_ieee_overflow 0
		.amdhsa_exception_fp_ieee_underflow 0
		.amdhsa_exception_fp_ieee_inexact 0
		.amdhsa_exception_int_div_zero 0
	.end_amdhsa_kernel
	.text
.Lfunc_end0:
	.size	bluestein_single_fwd_len1050_dim1_sp_op_CI_CI, .Lfunc_end0-bluestein_single_fwd_len1050_dim1_sp_op_CI_CI
                                        ; -- End function
	.section	.AMDGPU.csdata,"",@progbits
; Kernel info:
; codeLenInByte = 7316
; NumSgprs: 30
; NumVgprs: 104
; NumAgprs: 0
; TotalNumVgprs: 104
; ScratchSize: 0
; MemoryBound: 0
; FloatMode: 240
; IeeeMode: 1
; LDSByteSize: 8400 bytes/workgroup (compile time only)
; SGPRBlocks: 3
; VGPRBlocks: 12
; NumSGPRsForWavesPerEU: 30
; NumVGPRsForWavesPerEU: 104
; AccumOffset: 104
; Occupancy: 4
; WaveLimiterHint : 1
; COMPUTE_PGM_RSRC2:SCRATCH_EN: 0
; COMPUTE_PGM_RSRC2:USER_SGPR: 2
; COMPUTE_PGM_RSRC2:TRAP_HANDLER: 0
; COMPUTE_PGM_RSRC2:TGID_X_EN: 1
; COMPUTE_PGM_RSRC2:TGID_Y_EN: 0
; COMPUTE_PGM_RSRC2:TGID_Z_EN: 0
; COMPUTE_PGM_RSRC2:TIDIG_COMP_CNT: 0
; COMPUTE_PGM_RSRC3_GFX90A:ACCUM_OFFSET: 25
; COMPUTE_PGM_RSRC3_GFX90A:TG_SPLIT: 0
	.text
	.p2alignl 6, 3212836864
	.fill 256, 4, 3212836864
	.type	__hip_cuid_4a787fc3f21dcd3b,@object ; @__hip_cuid_4a787fc3f21dcd3b
	.section	.bss,"aw",@nobits
	.globl	__hip_cuid_4a787fc3f21dcd3b
__hip_cuid_4a787fc3f21dcd3b:
	.byte	0                               ; 0x0
	.size	__hip_cuid_4a787fc3f21dcd3b, 1

	.ident	"AMD clang version 19.0.0git (https://github.com/RadeonOpenCompute/llvm-project roc-6.4.0 25133 c7fe45cf4b819c5991fe208aaa96edf142730f1d)"
	.section	".note.GNU-stack","",@progbits
	.addrsig
	.addrsig_sym __hip_cuid_4a787fc3f21dcd3b
	.amdgpu_metadata
---
amdhsa.kernels:
  - .agpr_count:     0
    .args:
      - .actual_access:  read_only
        .address_space:  global
        .offset:         0
        .size:           8
        .value_kind:     global_buffer
      - .actual_access:  read_only
        .address_space:  global
        .offset:         8
        .size:           8
        .value_kind:     global_buffer
      - .actual_access:  read_only
        .address_space:  global
        .offset:         16
        .size:           8
        .value_kind:     global_buffer
      - .actual_access:  read_only
        .address_space:  global
        .offset:         24
        .size:           8
        .value_kind:     global_buffer
      - .actual_access:  read_only
        .address_space:  global
        .offset:         32
        .size:           8
        .value_kind:     global_buffer
      - .offset:         40
        .size:           8
        .value_kind:     by_value
      - .address_space:  global
        .offset:         48
        .size:           8
        .value_kind:     global_buffer
      - .address_space:  global
        .offset:         56
        .size:           8
        .value_kind:     global_buffer
      - .address_space:  global
        .offset:         64
        .size:           8
        .value_kind:     global_buffer
      - .address_space:  global
        .offset:         72
        .size:           8
        .value_kind:     global_buffer
      - .offset:         80
        .size:           4
        .value_kind:     by_value
      - .address_space:  global
        .offset:         88
        .size:           8
        .value_kind:     global_buffer
      - .address_space:  global
        .offset:         96
        .size:           8
        .value_kind:     global_buffer
    .group_segment_fixed_size: 8400
    .kernarg_segment_align: 8
    .kernarg_segment_size: 104
    .language:       OpenCL C
    .language_version:
      - 2
      - 0
    .max_flat_workgroup_size: 210
    .name:           bluestein_single_fwd_len1050_dim1_sp_op_CI_CI
    .private_segment_fixed_size: 0
    .sgpr_count:     30
    .sgpr_spill_count: 0
    .symbol:         bluestein_single_fwd_len1050_dim1_sp_op_CI_CI.kd
    .uniform_work_group_size: 1
    .uses_dynamic_stack: false
    .vgpr_count:     104
    .vgpr_spill_count: 0
    .wavefront_size: 64
amdhsa.target:   amdgcn-amd-amdhsa--gfx950
amdhsa.version:
  - 1
  - 2
...

	.end_amdgpu_metadata
